;; amdgpu-corpus repo=ROCm/rocFFT kind=compiled arch=gfx906 opt=O3
	.text
	.amdgcn_target "amdgcn-amd-amdhsa--gfx906"
	.amdhsa_code_object_version 6
	.protected	fft_rtc_back_len208_factors_13_16_wgs_64_tpt_16_halfLds_dp_op_CI_CI_unitstride_sbrr_R2C_dirReg ; -- Begin function fft_rtc_back_len208_factors_13_16_wgs_64_tpt_16_halfLds_dp_op_CI_CI_unitstride_sbrr_R2C_dirReg
	.globl	fft_rtc_back_len208_factors_13_16_wgs_64_tpt_16_halfLds_dp_op_CI_CI_unitstride_sbrr_R2C_dirReg
	.p2align	8
	.type	fft_rtc_back_len208_factors_13_16_wgs_64_tpt_16_halfLds_dp_op_CI_CI_unitstride_sbrr_R2C_dirReg,@function
fft_rtc_back_len208_factors_13_16_wgs_64_tpt_16_halfLds_dp_op_CI_CI_unitstride_sbrr_R2C_dirReg: ; @fft_rtc_back_len208_factors_13_16_wgs_64_tpt_16_halfLds_dp_op_CI_CI_unitstride_sbrr_R2C_dirReg
; %bb.0:
	s_load_dwordx4 s[8:11], s[4:5], 0x58
	s_load_dwordx4 s[12:15], s[4:5], 0x0
	;; [unrolled: 1-line block ×3, first 2 shown]
	v_lshrrev_b32_e32 v7, 4, v0
	v_mov_b32_e32 v3, 0
	v_mov_b32_e32 v1, 0
	s_waitcnt lgkmcnt(0)
	v_cmp_lt_u64_e64 s[0:1], s[14:15], 2
	v_lshl_or_b32 v5, s6, 2, v7
	v_mov_b32_e32 v6, v3
	s_and_b64 vcc, exec, s[0:1]
	v_mov_b32_e32 v2, 0
	s_cbranch_vccnz .LBB0_8
; %bb.1:
	s_load_dwordx2 s[0:1], s[4:5], 0x10
	s_add_u32 s2, s18, 8
	s_addc_u32 s3, s19, 0
	s_add_u32 s6, s16, 8
	v_mov_b32_e32 v1, 0
	s_addc_u32 s7, s17, 0
	v_mov_b32_e32 v2, 0
	s_waitcnt lgkmcnt(0)
	s_add_u32 s20, s0, 8
	v_mov_b32_e32 v65, v2
	s_addc_u32 s21, s1, 0
	s_mov_b64 s[22:23], 1
	v_mov_b32_e32 v64, v1
.LBB0_2:                                ; =>This Inner Loop Header: Depth=1
	s_load_dwordx2 s[24:25], s[20:21], 0x0
                                        ; implicit-def: $vgpr68_vgpr69
	s_waitcnt lgkmcnt(0)
	v_or_b32_e32 v4, s25, v6
	v_cmp_ne_u64_e32 vcc, 0, v[3:4]
	s_and_saveexec_b64 s[0:1], vcc
	s_xor_b64 s[26:27], exec, s[0:1]
	s_cbranch_execz .LBB0_4
; %bb.3:                                ;   in Loop: Header=BB0_2 Depth=1
	v_cvt_f32_u32_e32 v4, s24
	v_cvt_f32_u32_e32 v8, s25
	s_sub_u32 s0, 0, s24
	s_subb_u32 s1, 0, s25
	v_mac_f32_e32 v4, 0x4f800000, v8
	v_rcp_f32_e32 v4, v4
	v_mul_f32_e32 v4, 0x5f7ffffc, v4
	v_mul_f32_e32 v8, 0x2f800000, v4
	v_trunc_f32_e32 v8, v8
	v_mac_f32_e32 v4, 0xcf800000, v8
	v_cvt_u32_f32_e32 v8, v8
	v_cvt_u32_f32_e32 v4, v4
	v_mul_lo_u32 v9, s0, v8
	v_mul_hi_u32 v10, s0, v4
	v_mul_lo_u32 v12, s1, v4
	v_mul_lo_u32 v11, s0, v4
	v_add_u32_e32 v9, v10, v9
	v_add_u32_e32 v9, v9, v12
	v_mul_hi_u32 v10, v4, v11
	v_mul_lo_u32 v12, v4, v9
	v_mul_hi_u32 v14, v4, v9
	v_mul_hi_u32 v13, v8, v11
	v_mul_lo_u32 v11, v8, v11
	v_mul_hi_u32 v15, v8, v9
	v_add_co_u32_e32 v10, vcc, v10, v12
	v_addc_co_u32_e32 v12, vcc, 0, v14, vcc
	v_mul_lo_u32 v9, v8, v9
	v_add_co_u32_e32 v10, vcc, v10, v11
	v_addc_co_u32_e32 v10, vcc, v12, v13, vcc
	v_addc_co_u32_e32 v11, vcc, 0, v15, vcc
	v_add_co_u32_e32 v9, vcc, v10, v9
	v_addc_co_u32_e32 v10, vcc, 0, v11, vcc
	v_add_co_u32_e32 v4, vcc, v4, v9
	v_addc_co_u32_e32 v8, vcc, v8, v10, vcc
	v_mul_lo_u32 v9, s0, v8
	v_mul_hi_u32 v10, s0, v4
	v_mul_lo_u32 v11, s1, v4
	v_mul_lo_u32 v12, s0, v4
	v_add_u32_e32 v9, v10, v9
	v_add_u32_e32 v9, v9, v11
	v_mul_lo_u32 v13, v4, v9
	v_mul_hi_u32 v14, v4, v12
	v_mul_hi_u32 v15, v4, v9
	v_mul_hi_u32 v11, v8, v12
	v_mul_lo_u32 v12, v8, v12
	v_mul_hi_u32 v10, v8, v9
	v_add_co_u32_e32 v13, vcc, v14, v13
	v_addc_co_u32_e32 v14, vcc, 0, v15, vcc
	v_mul_lo_u32 v9, v8, v9
	v_add_co_u32_e32 v12, vcc, v13, v12
	v_addc_co_u32_e32 v11, vcc, v14, v11, vcc
	v_addc_co_u32_e32 v10, vcc, 0, v10, vcc
	v_add_co_u32_e32 v9, vcc, v11, v9
	v_addc_co_u32_e32 v10, vcc, 0, v10, vcc
	v_add_co_u32_e32 v4, vcc, v4, v9
	v_addc_co_u32_e32 v10, vcc, v8, v10, vcc
	v_mad_u64_u32 v[8:9], s[0:1], v5, v10, 0
	v_mul_hi_u32 v11, v5, v4
	v_add_co_u32_e32 v12, vcc, v11, v8
	v_addc_co_u32_e32 v13, vcc, 0, v9, vcc
	v_mad_u64_u32 v[8:9], s[0:1], v6, v4, 0
	v_mad_u64_u32 v[10:11], s[0:1], v6, v10, 0
	v_add_co_u32_e32 v4, vcc, v12, v8
	v_addc_co_u32_e32 v4, vcc, v13, v9, vcc
	v_addc_co_u32_e32 v8, vcc, 0, v11, vcc
	v_add_co_u32_e32 v4, vcc, v4, v10
	v_addc_co_u32_e32 v10, vcc, 0, v8, vcc
	v_mul_lo_u32 v11, s25, v4
	v_mul_lo_u32 v12, s24, v10
	v_mad_u64_u32 v[8:9], s[0:1], s24, v4, 0
	v_add3_u32 v9, v9, v12, v11
	v_sub_u32_e32 v11, v6, v9
	v_mov_b32_e32 v12, s25
	v_sub_co_u32_e32 v8, vcc, v5, v8
	v_subb_co_u32_e64 v11, s[0:1], v11, v12, vcc
	v_subrev_co_u32_e64 v12, s[0:1], s24, v8
	v_subbrev_co_u32_e64 v11, s[0:1], 0, v11, s[0:1]
	v_cmp_le_u32_e64 s[0:1], s25, v11
	v_cndmask_b32_e64 v13, 0, -1, s[0:1]
	v_cmp_le_u32_e64 s[0:1], s24, v12
	v_cndmask_b32_e64 v12, 0, -1, s[0:1]
	v_cmp_eq_u32_e64 s[0:1], s25, v11
	v_cndmask_b32_e64 v11, v13, v12, s[0:1]
	v_add_co_u32_e64 v12, s[0:1], 2, v4
	v_addc_co_u32_e64 v13, s[0:1], 0, v10, s[0:1]
	v_add_co_u32_e64 v14, s[0:1], 1, v4
	v_addc_co_u32_e64 v15, s[0:1], 0, v10, s[0:1]
	v_subb_co_u32_e32 v9, vcc, v6, v9, vcc
	v_cmp_ne_u32_e64 s[0:1], 0, v11
	v_cmp_le_u32_e32 vcc, s25, v9
	v_cndmask_b32_e64 v11, v15, v13, s[0:1]
	v_cndmask_b32_e64 v13, 0, -1, vcc
	v_cmp_le_u32_e32 vcc, s24, v8
	v_cndmask_b32_e64 v8, 0, -1, vcc
	v_cmp_eq_u32_e32 vcc, s25, v9
	v_cndmask_b32_e32 v8, v13, v8, vcc
	v_cmp_ne_u32_e32 vcc, 0, v8
	v_cndmask_b32_e64 v8, v14, v12, s[0:1]
	v_cndmask_b32_e32 v69, v10, v11, vcc
	v_cndmask_b32_e32 v68, v4, v8, vcc
.LBB0_4:                                ;   in Loop: Header=BB0_2 Depth=1
	s_andn2_saveexec_b64 s[0:1], s[26:27]
	s_cbranch_execz .LBB0_6
; %bb.5:                                ;   in Loop: Header=BB0_2 Depth=1
	v_cvt_f32_u32_e32 v4, s24
	s_sub_i32 s26, 0, s24
	v_mov_b32_e32 v69, v3
	v_rcp_iflag_f32_e32 v4, v4
	v_mul_f32_e32 v4, 0x4f7ffffe, v4
	v_cvt_u32_f32_e32 v4, v4
	v_mul_lo_u32 v8, s26, v4
	v_mul_hi_u32 v8, v4, v8
	v_add_u32_e32 v4, v4, v8
	v_mul_hi_u32 v4, v5, v4
	v_mul_lo_u32 v8, v4, s24
	v_add_u32_e32 v9, 1, v4
	v_sub_u32_e32 v8, v5, v8
	v_subrev_u32_e32 v10, s24, v8
	v_cmp_le_u32_e32 vcc, s24, v8
	v_cndmask_b32_e32 v8, v8, v10, vcc
	v_cndmask_b32_e32 v4, v4, v9, vcc
	v_add_u32_e32 v9, 1, v4
	v_cmp_le_u32_e32 vcc, s24, v8
	v_cndmask_b32_e32 v68, v4, v9, vcc
.LBB0_6:                                ;   in Loop: Header=BB0_2 Depth=1
	s_or_b64 exec, exec, s[0:1]
	v_mul_lo_u32 v4, v69, s24
	v_mul_lo_u32 v10, v68, s25
	v_mad_u64_u32 v[8:9], s[0:1], v68, s24, 0
	s_load_dwordx2 s[0:1], s[6:7], 0x0
	s_load_dwordx2 s[24:25], s[2:3], 0x0
	v_add3_u32 v4, v9, v10, v4
	v_sub_co_u32_e32 v5, vcc, v5, v8
	v_subb_co_u32_e32 v4, vcc, v6, v4, vcc
	s_waitcnt lgkmcnt(0)
	v_mul_lo_u32 v6, s0, v4
	v_mul_lo_u32 v8, s1, v5
	v_mad_u64_u32 v[1:2], s[0:1], s0, v5, v[1:2]
	v_mul_lo_u32 v4, s24, v4
	v_mul_lo_u32 v9, s25, v5
	v_mad_u64_u32 v[64:65], s[0:1], s24, v5, v[64:65]
	s_add_u32 s22, s22, 1
	s_addc_u32 s23, s23, 0
	s_add_u32 s2, s2, 8
	v_add3_u32 v65, v9, v65, v4
	s_addc_u32 s3, s3, 0
	v_mov_b32_e32 v4, s14
	s_add_u32 s6, s6, 8
	v_mov_b32_e32 v5, s15
	s_addc_u32 s7, s7, 0
	v_cmp_ge_u64_e32 vcc, s[22:23], v[4:5]
	s_add_u32 s20, s20, 8
	v_add3_u32 v2, v8, v2, v6
	s_addc_u32 s21, s21, 0
	s_cbranch_vccnz .LBB0_9
; %bb.7:                                ;   in Loop: Header=BB0_2 Depth=1
	v_mov_b32_e32 v5, v68
	v_mov_b32_e32 v6, v69
	s_branch .LBB0_2
.LBB0_8:
	v_mov_b32_e32 v65, v2
	v_mov_b32_e32 v69, v6
	;; [unrolled: 1-line block ×4, first 2 shown]
.LBB0_9:
	s_load_dwordx2 s[0:1], s[4:5], 0x28
	s_lshl_b64 s[6:7], s[14:15], 3
	s_add_u32 s2, s18, s6
	s_addc_u32 s3, s19, s7
	v_and_b32_e32 v66, 15, v0
	s_waitcnt lgkmcnt(0)
	v_cmp_gt_u64_e32 vcc, s[0:1], v[68:69]
	v_cmp_le_u64_e64 s[0:1], s[0:1], v[68:69]
	s_and_saveexec_b64 s[4:5], s[0:1]
	s_xor_b64 s[0:1], exec, s[4:5]
; %bb.10:
	v_and_b32_e32 v66, 15, v0
                                        ; implicit-def: $vgpr1_vgpr2
; %bb.11:
	s_or_saveexec_b64 s[4:5], s[0:1]
	v_mul_u32_u24_e32 v0, 0xd1, v7
	v_lshlrev_b32_e32 v0, 4, v0
	s_xor_b64 exec, exec, s[4:5]
	s_cbranch_execz .LBB0_13
; %bb.12:
	s_add_u32 s0, s16, s6
	s_addc_u32 s1, s17, s7
	s_load_dwordx2 s[0:1], s[0:1], 0x0
	v_mov_b32_e32 v7, s9
	v_lshlrev_b64 v[1:2], 4, v[1:2]
	v_lshlrev_b32_e32 v55, 4, v66
	s_waitcnt lgkmcnt(0)
	v_mul_lo_u32 v5, s1, v68
	v_mul_lo_u32 v6, s0, v69
	v_mad_u64_u32 v[3:4], s[0:1], s0, v68, 0
	v_add3_u32 v4, v4, v6, v5
	v_lshlrev_b64 v[3:4], 4, v[3:4]
	v_add_co_u32_e64 v3, s[0:1], s8, v3
	v_addc_co_u32_e64 v4, s[0:1], v7, v4, s[0:1]
	v_add_co_u32_e64 v1, s[0:1], v3, v1
	v_addc_co_u32_e64 v2, s[0:1], v4, v2, s[0:1]
	;; [unrolled: 2-line block ×3, first 2 shown]
	global_load_dwordx4 v[1:4], v[53:54], off
	global_load_dwordx4 v[5:8], v[53:54], off offset:256
	global_load_dwordx4 v[9:12], v[53:54], off offset:512
	;; [unrolled: 1-line block ×12, first 2 shown]
	v_add3_u32 v53, 0, v0, v55
	s_waitcnt vmcnt(12)
	ds_write_b128 v53, v[1:4]
	s_waitcnt vmcnt(11)
	ds_write_b128 v53, v[5:8] offset:256
	s_waitcnt vmcnt(10)
	ds_write_b128 v53, v[9:12] offset:512
	;; [unrolled: 2-line block ×12, first 2 shown]
.LBB0_13:
	s_or_b64 exec, exec, s[4:5]
	v_add_u32_e32 v82, 0, v0
	v_lshlrev_b32_e32 v67, 4, v66
	v_add_u32_e32 v83, v82, v67
	s_load_dwordx2 s[2:3], s[2:3], 0x0
	s_waitcnt lgkmcnt(0)
	; wave barrier
	s_waitcnt lgkmcnt(0)
	v_add3_u32 v84, 0, v67, v0
	ds_read_b128 v[4:7], v83
	ds_read_b128 v[0:3], v84 offset:256
	ds_read_b128 v[8:11], v84 offset:512
	;; [unrolled: 1-line block ×3, first 2 shown]
	s_mov_b32 s16, 0x42a4c3d2
	s_mov_b32 s4, 0x66966769
	;; [unrolled: 1-line block ×3, first 2 shown]
	s_waitcnt lgkmcnt(2)
	v_add_f64 v[16:17], v[4:5], v[0:1]
	v_add_f64 v[18:19], v[6:7], v[2:3]
	s_mov_b32 s5, 0xbfefc445
	s_mov_b32 s22, 0x4267c47c
	;; [unrolled: 1-line block ×6, first 2 shown]
	s_waitcnt lgkmcnt(1)
	v_add_f64 v[16:17], v[16:17], v[8:9]
	v_add_f64 v[18:19], v[18:19], v[10:11]
	s_mov_b32 s40, 0x4bc48dbf
	ds_read_b128 v[20:23], v84 offset:1280
	s_mov_b32 s23, 0xbfddbe06
	s_mov_b32 s15, 0x3fe22d96
	;; [unrolled: 1-line block ×4, first 2 shown]
	s_waitcnt lgkmcnt(1)
	v_add_f64 v[24:25], v[16:17], v[12:13]
	v_add_f64 v[26:27], v[18:19], v[14:15]
	ds_read_b128 v[16:19], v84 offset:1024
	s_mov_b32 s21, 0xbfe5384d
	s_mov_b32 s41, 0xbfcea1e5
	;; [unrolled: 1-line block ×5, first 2 shown]
	s_waitcnt lgkmcnt(0)
	v_add_f64 v[24:25], v[24:25], v[16:17]
	v_add_f64 v[26:27], v[26:27], v[18:19]
	s_mov_b32 s38, 0x93053d00
	s_mov_b32 s19, 0x3fec55a7
	;; [unrolled: 1-line block ×6, first 2 shown]
	v_add_f64 v[32:33], v[24:25], v[20:21]
	v_add_f64 v[34:35], v[26:27], v[22:23]
	ds_read_b128 v[24:27], v84 offset:1536
	ds_read_b128 v[28:31], v84 offset:1792
	;; [unrolled: 1-line block ×7, first 2 shown]
	s_mov_b32 s34, s22
	s_mov_b32 s29, 0x3fea55e2
	s_waitcnt lgkmcnt(5)
	v_add_f64 v[36:37], v[26:27], v[30:31]
	v_add_f64 v[38:39], v[32:33], v[24:25]
	;; [unrolled: 1-line block ×4, first 2 shown]
	v_add_f64 v[32:33], v[24:25], -v[28:29]
	v_add_f64 v[46:47], v[26:27], -v[30:31]
	s_waitcnt lgkmcnt(4)
	v_add_f64 v[50:51], v[22:23], v[42:43]
	v_add_f64 v[54:55], v[22:23], -v[42:43]
	s_waitcnt lgkmcnt(2)
	v_add_f64 v[58:59], v[12:13], v[85:86]
	v_add_f64 v[24:25], v[38:39], v[28:29]
	;; [unrolled: 1-line block ×4, first 2 shown]
	v_add_f64 v[44:45], v[20:21], -v[40:41]
	v_add_f64 v[74:75], v[14:15], v[87:88]
	v_add_f64 v[60:61], v[12:13], -v[85:86]
	v_add_f64 v[76:77], v[14:15], -v[87:88]
	v_add_f64 v[48:49], v[16:17], v[70:71]
	v_add_f64 v[20:21], v[24:25], v[40:41]
	;; [unrolled: 1-line block ×3, first 2 shown]
	v_add_f64 v[52:53], v[16:17], -v[70:71]
	s_waitcnt lgkmcnt(0)
	v_add_f64 v[16:17], v[2:3], -v[95:96]
	v_add_f64 v[78:79], v[10:11], v[91:92]
	v_add_f64 v[80:81], v[10:11], -v[91:92]
	v_add_f64 v[56:57], v[18:19], v[72:73]
	;; [unrolled: 2-line block ×3, first 2 shown]
	v_add_f64 v[14:15], v[22:23], v[72:73]
	v_add_f64 v[70:71], v[8:9], v[89:90]
	v_add_f64 v[72:73], v[8:9], -v[89:90]
	v_add_f64 v[8:9], v[0:1], v[93:94]
	v_add_f64 v[18:19], v[2:3], v[95:96]
	v_mul_f64 v[2:3], v[16:17], s[16:17]
	v_add_f64 v[20:21], v[0:1], -v[93:94]
	v_add_f64 v[10:11], v[12:13], v[85:86]
	v_add_f64 v[12:13], v[14:15], v[87:88]
	v_mul_f64 v[0:1], v[16:17], s[4:5]
	v_mul_f64 v[14:15], v[16:17], s[22:23]
	;; [unrolled: 1-line block ×4, first 2 shown]
	v_fma_f64 v[26:27], v[8:9], s[14:15], v[2:3]
	v_fma_f64 v[28:29], v[8:9], s[14:15], -v[2:3]
	v_add_f64 v[10:11], v[10:11], v[89:90]
	v_add_f64 v[12:13], v[12:13], v[91:92]
	v_fma_f64 v[30:31], v[8:9], s[0:1], v[0:1]
	v_fma_f64 v[40:41], v[8:9], s[0:1], -v[0:1]
	v_fma_f64 v[24:25], v[8:9], s[18:19], v[14:15]
	v_fma_f64 v[14:15], v[8:9], s[18:19], -v[14:15]
	v_mul_f64 v[91:92], v[18:19], s[0:1]
	s_mov_b32 s28, s16
	v_add_f64 v[0:1], v[10:11], v[93:94]
	v_add_f64 v[2:3], v[12:13], v[95:96]
	v_mul_f64 v[10:11], v[16:17], s[20:21]
	v_mul_f64 v[12:13], v[16:17], s[40:41]
	v_fma_f64 v[16:17], v[8:9], s[8:9], v[22:23]
	v_fma_f64 v[22:23], v[8:9], s[8:9], -v[22:23]
	s_mov_b32 s25, 0x3fefc445
	s_mov_b32 s24, s4
	v_fma_f64 v[89:90], v[20:21], s[34:35], v[85:86]
	v_mul_f64 v[95:96], v[18:19], s[8:9]
	v_fma_f64 v[42:43], v[8:9], s[26:27], v[10:11]
	v_fma_f64 v[10:11], v[8:9], s[26:27], -v[10:11]
	v_fma_f64 v[87:88], v[8:9], s[38:39], v[12:13]
	v_fma_f64 v[8:9], v[8:9], s[38:39], -v[12:13]
	v_mul_f64 v[12:13], v[18:19], s[14:15]
	v_fma_f64 v[97:98], v[20:21], s[24:25], v[91:92]
	v_mul_f64 v[99:100], v[18:19], s[26:27]
	v_mul_f64 v[18:19], v[18:19], s[38:39]
	s_mov_b32 s31, 0x3fedeba7
	s_mov_b32 s30, s6
	;; [unrolled: 1-line block ×4, first 2 shown]
	v_fma_f64 v[93:94], v[20:21], s[28:29], v[12:13]
	s_mov_b32 s43, 0x3fcea1e5
	s_mov_b32 s42, s40
	v_fma_f64 v[85:86], v[20:21], s[22:23], v[85:86]
	v_fma_f64 v[12:13], v[20:21], s[16:17], v[12:13]
	;; [unrolled: 1-line block ×9, first 2 shown]
	v_add_f64 v[20:21], v[4:5], v[24:25]
	v_add_f64 v[24:25], v[6:7], v[89:90]
	;; [unrolled: 1-line block ×4, first 2 shown]
	v_mul_f64 v[97:98], v[80:81], s[16:17]
	v_mul_f64 v[107:108], v[78:79], s[14:15]
	v_add_f64 v[109:110], v[4:5], v[16:17]
	v_add_f64 v[111:112], v[4:5], v[42:43]
	v_mul_f64 v[113:114], v[76:77], s[4:5]
	v_mul_f64 v[115:116], v[74:75], s[0:1]
	v_add_f64 v[117:118], v[4:5], v[10:11]
	v_mul_f64 v[119:120], v[56:57], s[8:9]
	v_fma_f64 v[16:17], v[70:71], s[14:15], v[97:98]
	v_fma_f64 v[42:43], v[72:73], s[28:29], v[107:108]
	v_add_f64 v[14:15], v[4:5], v[14:15]
	v_add_f64 v[85:86], v[6:7], v[85:86]
	;; [unrolled: 1-line block ×8, first 2 shown]
	v_fma_f64 v[20:21], v[58:59], s[0:1], v[113:114]
	v_fma_f64 v[24:25], v[60:61], s[24:25], v[115:116]
	v_mul_f64 v[42:43], v[62:63], s[6:7]
	v_add_f64 v[40:41], v[4:5], v[40:41]
	v_add_f64 v[91:92], v[6:7], v[91:92]
	;; [unrolled: 1-line block ×11, first 2 shown]
	v_fma_f64 v[4:5], v[70:71], s[14:15], -v[97:98]
	v_fma_f64 v[6:7], v[72:73], s[16:17], v[107:108]
	v_add_f64 v[8:9], v[20:21], v[10:11]
	v_add_f64 v[10:11], v[24:25], v[16:17]
	v_fma_f64 v[16:17], v[48:49], s[8:9], v[42:43]
	v_fma_f64 v[18:19], v[52:53], s[30:31], v[119:120]
	v_mul_f64 v[20:21], v[54:55], s[20:21]
	v_mul_f64 v[24:25], v[50:51], s[26:27]
	v_add_f64 v[4:5], v[4:5], v[14:15]
	v_add_f64 v[6:7], v[6:7], v[85:86]
	v_fma_f64 v[14:15], v[58:59], s[0:1], -v[113:114]
	v_fma_f64 v[85:86], v[60:61], s[4:5], v[115:116]
	v_add_f64 v[8:9], v[16:17], v[8:9]
	v_add_f64 v[10:11], v[18:19], v[10:11]
	v_fma_f64 v[16:17], v[38:39], s[26:27], v[20:21]
	v_fma_f64 v[18:19], v[44:45], s[36:37], v[24:25]
	v_mul_f64 v[97:98], v[46:47], s[40:41]
	v_mul_f64 v[107:108], v[36:37], s[38:39]
	v_add_f64 v[4:5], v[14:15], v[4:5]
	v_add_f64 v[6:7], v[85:86], v[6:7]
	;; [unrolled: 10-line block ×17, first 2 shown]
	v_fma_f64 v[85:86], v[48:49], s[0:1], -v[107:108]
	v_fma_f64 v[89:90], v[52:53], s[4:5], v[109:110]
	v_add_f64 v[20:21], v[91:92], v[20:21]
	v_add_f64 v[28:29], v[93:94], v[28:29]
	v_mul_f64 v[91:92], v[80:81], s[24:25]
	v_mul_f64 v[93:94], v[78:79], s[0:1]
	v_fma_f64 v[109:110], v[32:33], s[16:17], v[113:114]
	v_mul_f64 v[119:120], v[76:77], s[16:17]
	v_add_f64 v[85:86], v[85:86], v[22:23]
	v_add_f64 v[30:31], v[89:90], v[30:31]
	v_fma_f64 v[89:90], v[38:39], s[38:39], -v[97:98]
	v_fma_f64 v[97:98], v[44:45], s[42:43], v[101:102]
	v_fma_f64 v[101:102], v[70:71], s[0:1], v[91:92]
	;; [unrolled: 1-line block ×3, first 2 shown]
	v_fma_f64 v[91:92], v[70:71], s[0:1], -v[91:92]
	v_fma_f64 v[93:94], v[72:73], s[24:25], v[93:94]
	v_fma_f64 v[107:108], v[34:35], s[14:15], v[95:96]
	v_add_f64 v[22:23], v[109:110], v[28:29]
	v_add_f64 v[28:29], v[89:90], v[85:86]
	;; [unrolled: 1-line block ×5, first 2 shown]
	v_fma_f64 v[97:98], v[58:59], s[14:15], v[119:120]
	v_mul_f64 v[103:104], v[62:63], s[42:43]
	v_fma_f64 v[95:96], v[34:35], s[14:15], -v[95:96]
	v_add_f64 v[91:92], v[91:92], v[117:118]
	v_add_f64 v[93:94], v[93:94], v[99:100]
	v_fma_f64 v[99:100], v[58:59], s[14:15], -v[119:120]
	v_mul_f64 v[125:126], v[74:75], s[14:15]
	v_fma_f64 v[109:110], v[32:33], s[28:29], v[113:114]
	v_add_f64 v[85:86], v[97:98], v[85:86]
	v_fma_f64 v[97:98], v[48:49], s[38:39], v[103:104]
	v_mul_f64 v[111:112], v[54:55], s[34:35]
	v_add_f64 v[28:29], v[95:96], v[28:29]
	v_fma_f64 v[95:96], v[48:49], s[38:39], -v[103:104]
	v_add_f64 v[91:92], v[99:100], v[91:92]
	v_mul_f64 v[80:81], v[80:81], s[34:35]
	v_mul_f64 v[78:79], v[78:79], s[18:19]
	v_add_f64 v[20:21], v[107:108], v[20:21]
	v_fma_f64 v[101:102], v[60:61], s[28:29], v[125:126]
	v_mul_f64 v[107:108], v[56:57], s[38:39]
	v_add_f64 v[85:86], v[97:98], v[85:86]
	v_fma_f64 v[97:98], v[38:39], s[18:19], v[111:112]
	v_add_f64 v[30:31], v[109:110], v[30:31]
	v_add_f64 v[91:92], v[95:96], v[91:92]
	v_fma_f64 v[95:96], v[38:39], s[18:19], -v[111:112]
	v_fma_f64 v[109:110], v[70:71], s[18:19], v[80:81]
	v_fma_f64 v[111:112], v[72:73], s[22:23], v[78:79]
	v_mul_f64 v[76:77], v[76:77], s[20:21]
	v_mul_f64 v[74:75], v[74:75], s[26:27]
	v_fma_f64 v[70:71], v[70:71], s[18:19], -v[80:81]
	v_fma_f64 v[72:73], v[72:73], s[34:35], v[78:79]
	v_add_f64 v[89:90], v[101:102], v[89:90]
	v_fma_f64 v[101:102], v[52:53], s[40:41], v[107:108]
	v_mul_f64 v[113:114], v[50:51], s[18:19]
	v_fma_f64 v[115:116], v[60:61], s[16:17], v[125:126]
	v_add_f64 v[91:92], v[95:96], v[91:92]
	v_add_f64 v[78:79], v[109:110], v[87:88]
	;; [unrolled: 1-line block ×3, first 2 shown]
	v_fma_f64 v[87:88], v[58:59], s[26:27], v[76:77]
	v_fma_f64 v[95:96], v[60:61], s[36:37], v[74:75]
	v_mul_f64 v[62:63], v[62:63], s[28:29]
	v_mul_f64 v[56:57], v[56:57], s[14:15]
	v_add_f64 v[70:71], v[70:71], v[121:122]
	v_add_f64 v[72:73], v[72:73], v[123:124]
	v_fma_f64 v[58:59], v[58:59], s[26:27], -v[76:77]
	v_fma_f64 v[60:61], v[60:61], s[20:21], v[74:75]
	v_add_f64 v[89:90], v[101:102], v[89:90]
	v_fma_f64 v[101:102], v[44:45], s[22:23], v[113:114]
	v_add_f64 v[93:94], v[115:116], v[93:94]
	;; [unrolled: 2-line block ×3, first 2 shown]
	v_add_f64 v[76:77], v[95:96], v[80:81]
	v_fma_f64 v[78:79], v[48:49], s[14:15], v[62:63]
	v_fma_f64 v[80:81], v[52:53], s[16:17], v[56:57]
	v_mul_f64 v[54:55], v[54:55], s[6:7]
	v_mul_f64 v[50:51], v[50:51], s[8:9]
	v_add_f64 v[58:59], v[58:59], v[70:71]
	v_add_f64 v[60:61], v[60:61], v[72:73]
	v_fma_f64 v[48:49], v[48:49], s[14:15], -v[62:63]
	v_fma_f64 v[52:53], v[52:53], s[28:29], v[56:57]
	v_add_f64 v[85:86], v[97:98], v[85:86]
	v_add_f64 v[89:90], v[101:102], v[89:90]
	v_mul_f64 v[97:98], v[46:47], s[6:7]
	v_mul_f64 v[101:102], v[36:37], s[8:9]
	v_add_f64 v[93:94], v[99:100], v[93:94]
	v_fma_f64 v[99:100], v[44:45], s[34:35], v[113:114]
	v_add_f64 v[56:57], v[78:79], v[74:75]
	v_add_f64 v[62:63], v[80:81], v[76:77]
	v_fma_f64 v[70:71], v[38:39], s[8:9], v[54:55]
	v_fma_f64 v[72:73], v[44:45], s[30:31], v[50:51]
	v_mul_f64 v[46:47], v[46:47], s[24:25]
	v_mul_f64 v[36:37], v[36:37], s[0:1]
	v_add_f64 v[48:49], v[48:49], v[58:59]
	v_add_f64 v[52:53], v[52:53], v[60:61]
	v_fma_f64 v[38:39], v[38:39], s[8:9], -v[54:55]
	v_fma_f64 v[44:45], v[44:45], s[6:7], v[50:51]
	v_fma_f64 v[103:104], v[34:35], s[8:9], v[97:98]
	;; [unrolled: 1-line block ×3, first 2 shown]
	v_add_f64 v[93:94], v[99:100], v[93:94]
	v_fma_f64 v[50:51], v[34:35], s[8:9], -v[97:98]
	v_fma_f64 v[54:55], v[32:33], s[6:7], v[101:102]
	v_add_f64 v[56:57], v[70:71], v[56:57]
	v_add_f64 v[58:59], v[72:73], v[62:63]
	v_fma_f64 v[60:61], v[34:35], s[0:1], v[46:47]
	v_fma_f64 v[62:63], v[32:33], s[4:5], v[36:37]
	v_add_f64 v[48:49], v[38:39], v[48:49]
	v_add_f64 v[70:71], v[44:45], v[52:53]
	v_fma_f64 v[44:45], v[34:35], s[0:1], -v[46:47]
	v_fma_f64 v[46:47], v[32:33], s[24:25], v[36:37]
	v_add_f64 v[32:33], v[103:104], v[85:86]
	v_add_f64 v[34:35], v[107:108], v[89:90]
	v_add_f64 v[36:37], v[50:51], v[91:92]
	v_add_f64 v[38:39], v[54:55], v[93:94]
	v_add_f64 v[52:53], v[60:61], v[56:57]
	v_add_f64 v[54:55], v[62:63], v[58:59]
	v_add_f64 v[44:45], v[44:45], v[48:49]
	v_add_f64 v[46:47], v[46:47], v[70:71]
	s_movk_i32 s0, 0xd0
	v_mad_u32_u24 v48, v66, s0, v82
	v_cmp_gt_u32_e64 s[0:1], 13, v66
	s_waitcnt lgkmcnt(0)
	; wave barrier
	ds_write_b128 v48, v[0:3]
	ds_write_b128 v48, v[4:7] offset:16
	ds_write_b128 v48, v[24:27] offset:32
	;; [unrolled: 1-line block ×12, first 2 shown]
	s_waitcnt lgkmcnt(0)
	; wave barrier
	s_waitcnt lgkmcnt(0)
                                        ; implicit-def: $vgpr50_vgpr51
                                        ; implicit-def: $vgpr62_vgpr63
                                        ; implicit-def: $vgpr58_vgpr59
	s_and_saveexec_b64 s[4:5], s[0:1]
	s_cbranch_execz .LBB0_15
; %bb.14:
	ds_read_b128 v[0:3], v83
	ds_read_b128 v[4:7], v84 offset:208
	ds_read_b128 v[24:27], v84 offset:416
	;; [unrolled: 1-line block ×15, first 2 shown]
.LBB0_15:
	s_or_b64 exec, exec, s[4:5]
	s_waitcnt lgkmcnt(0)
	; wave barrier
	s_waitcnt lgkmcnt(0)
	s_and_saveexec_b64 s[4:5], s[0:1]
	s_cbranch_execz .LBB0_17
; %bb.16:
	v_add_u32_e32 v70, -13, v66
	v_cndmask_b32_e64 v70, v70, v66, s[0:1]
	v_mul_i32_i24_e32 v70, 15, v70
	v_mov_b32_e32 v71, 0
	v_lshlrev_b64 v[70:71], 4, v[70:71]
	v_mov_b32_e32 v72, s13
	v_add_co_u32_e64 v109, s[0:1], s12, v70
	v_addc_co_u32_e64 v110, s[0:1], v72, v71, s[0:1]
	global_load_dwordx4 v[70:73], v[109:110], off offset:16
	global_load_dwordx4 v[74:77], v[109:110], off offset:144
	global_load_dwordx4 v[78:81], v[109:110], off offset:80
	global_load_dwordx4 v[85:88], v[109:110], off offset:208
	global_load_dwordx4 v[89:92], v[109:110], off offset:32
	global_load_dwordx4 v[93:96], v[109:110], off offset:48
	global_load_dwordx4 v[97:100], v[109:110], off offset:160
	global_load_dwordx4 v[101:104], v[109:110], off offset:112
	global_load_dwordx4 v[105:108], v[109:110], off offset:96
	s_mov_b32 s0, 0x667f3bcd
	s_mov_b32 s1, 0x3fe6a09e
	;; [unrolled: 1-line block ×12, first 2 shown]
	s_waitcnt vmcnt(8)
	v_mul_f64 v[111:112], v[24:25], v[72:73]
	v_mul_f64 v[72:73], v[26:27], v[72:73]
	s_waitcnt vmcnt(7)
	v_mul_f64 v[113:114], v[40:41], v[76:77]
	v_mul_f64 v[76:77], v[42:43], v[76:77]
	s_waitcnt vmcnt(6)
	v_mul_f64 v[115:116], v[54:55], v[80:81]
	v_fma_f64 v[111:112], v[26:27], v[70:71], -v[111:112]
	v_fma_f64 v[117:118], v[24:25], v[70:71], v[72:73]
	v_mul_f64 v[70:71], v[52:53], v[80:81]
	global_load_dwordx4 v[24:27], v[109:110], off offset:224
	s_waitcnt vmcnt(6)
	v_mul_f64 v[80:81], v[62:63], v[87:88]
	v_fma_f64 v[113:114], v[42:43], v[74:75], -v[113:114]
	v_fma_f64 v[119:120], v[40:41], v[74:75], v[76:77]
	global_load_dwordx4 v[40:43], v[109:110], off offset:176
	v_mul_f64 v[74:75], v[60:61], v[87:88]
	v_fma_f64 v[87:88], v[52:53], v[78:79], v[115:116]
	v_fma_f64 v[78:79], v[54:55], v[78:79], -v[70:71]
	global_load_dwordx4 v[52:55], v[109:110], off
	global_load_dwordx4 v[70:73], v[109:110], off offset:128
	v_fma_f64 v[80:81], v[60:61], v[85:86], v[80:81]
	v_fma_f64 v[85:86], v[62:63], v[85:86], -v[74:75]
	global_load_dwordx4 v[60:63], v[109:110], off offset:64
	global_load_dwordx4 v[74:77], v[109:110], off offset:192
	s_waitcnt vmcnt(10)
	v_mul_f64 v[109:110], v[16:17], v[91:92]
	v_mul_f64 v[91:92], v[18:19], v[91:92]
	v_fma_f64 v[18:19], v[18:19], v[89:90], -v[109:110]
	v_fma_f64 v[16:17], v[16:17], v[89:90], v[91:92]
	s_waitcnt vmcnt(8)
	v_mul_f64 v[89:90], v[12:13], v[99:100]
	v_mul_f64 v[91:92], v[14:15], v[99:100]
	s_waitcnt vmcnt(6)
	v_mul_f64 v[99:100], v[46:47], v[107:108]
	v_mul_f64 v[107:108], v[44:45], v[107:108]
	v_fma_f64 v[14:15], v[14:15], v[97:98], -v[89:90]
	v_fma_f64 v[12:13], v[12:13], v[97:98], v[91:92]
	v_fma_f64 v[44:45], v[44:45], v[105:106], v[99:100]
	v_fma_f64 v[46:47], v[46:47], v[105:106], -v[107:108]
	v_mul_f64 v[89:90], v[36:37], v[103:104]
	v_mul_f64 v[91:92], v[22:23], v[95:96]
	v_add_f64 v[14:15], v[18:19], -v[14:15]
	v_add_f64 v[12:13], v[16:17], -v[12:13]
	v_fma_f64 v[18:19], v[18:19], 2.0, -v[14:15]
	v_fma_f64 v[16:17], v[16:17], 2.0, -v[12:13]
	s_waitcnt vmcnt(5)
	v_mul_f64 v[97:98], v[58:59], v[26:27]
	v_mul_f64 v[26:27], v[56:57], v[26:27]
	s_waitcnt vmcnt(4)
	v_mul_f64 v[99:100], v[10:11], v[42:43]
	v_mul_f64 v[42:43], v[8:9], v[42:43]
	s_waitcnt vmcnt(3)
	v_mul_f64 v[105:106], v[4:5], v[54:55]
	v_mul_f64 v[54:55], v[6:7], v[54:55]
	v_fma_f64 v[56:57], v[56:57], v[24:25], v[97:98]
	v_fma_f64 v[24:25], v[58:59], v[24:25], -v[26:27]
	s_waitcnt vmcnt(2)
	v_mul_f64 v[107:108], v[28:29], v[72:73]
	v_mul_f64 v[72:73], v[30:31], v[72:73]
	s_waitcnt vmcnt(1)
	v_mul_f64 v[26:27], v[34:35], v[62:63]
	s_waitcnt vmcnt(0)
	v_mul_f64 v[58:59], v[50:51], v[76:77]
	v_fma_f64 v[6:7], v[6:7], v[52:53], -v[105:106]
	v_fma_f64 v[4:5], v[4:5], v[52:53], v[54:55]
	v_mul_f64 v[52:53], v[48:49], v[76:77]
	v_mul_f64 v[54:55], v[20:21], v[95:96]
	;; [unrolled: 1-line block ×4, first 2 shown]
	v_fma_f64 v[10:11], v[10:11], v[40:41], -v[42:43]
	v_fma_f64 v[38:39], v[38:39], v[101:102], -v[89:90]
	v_fma_f64 v[20:21], v[20:21], v[93:94], v[91:92]
	v_fma_f64 v[8:9], v[8:9], v[40:41], v[99:100]
	v_fma_f64 v[30:31], v[30:31], v[70:71], -v[107:108]
	v_fma_f64 v[22:23], v[22:23], v[93:94], -v[54:55]
	v_fma_f64 v[36:37], v[36:37], v[101:102], v[76:77]
	v_fma_f64 v[26:27], v[32:33], v[60:61], v[26:27]
	;; [unrolled: 1-line block ×4, first 2 shown]
	v_fma_f64 v[34:35], v[34:35], v[60:61], -v[62:63]
	v_fma_f64 v[48:49], v[50:51], v[74:75], -v[52:53]
	v_add_f64 v[50:51], v[117:118], -v[119:120]
	v_add_f64 v[52:53], v[78:79], -v[85:86]
	;; [unrolled: 1-line block ×14, first 2 shown]
	v_add_f64 v[70:71], v[50:51], v[52:53]
	v_add_f64 v[76:77], v[36:37], v[10:11]
	v_add_f64 v[56:57], v[40:41], -v[42:43]
	v_add_f64 v[58:59], v[38:39], -v[8:9]
	;; [unrolled: 1-line block ×4, first 2 shown]
	v_add_f64 v[72:73], v[12:13], v[24:25]
	v_add_f64 v[74:75], v[28:29], v[48:49]
	v_fma_f64 v[89:90], v[2:3], 2.0, -v[38:39]
	v_fma_f64 v[2:3], v[22:23], 2.0, -v[10:11]
	v_fma_f64 v[22:23], v[117:118], 2.0, -v[50:51]
	v_fma_f64 v[10:11], v[87:88], 2.0, -v[42:43]
	v_fma_f64 v[42:43], v[6:7], 2.0, -v[30:31]
	v_fma_f64 v[34:35], v[34:35], 2.0, -v[48:49]
	v_fma_f64 v[44:45], v[44:45], 2.0, -v[54:55]
	v_fma_f64 v[4:5], v[4:5], 2.0, -v[28:29]
	v_fma_f64 v[26:27], v[26:27], 2.0, -v[32:33]
	v_fma_f64 v[32:33], v[70:71], s[0:1], v[76:77]
	v_fma_f64 v[6:7], v[72:73], s[0:1], v[74:75]
	v_fma_f64 v[24:25], v[46:47], 2.0, -v[24:25]
	v_add_f64 v[46:47], v[89:90], -v[2:3]
	v_add_f64 v[54:55], v[22:23], -v[10:11]
	;; [unrolled: 1-line block ×4, first 2 shown]
	v_fma_f64 v[38:39], v[38:39], 2.0, -v[58:59]
	v_fma_f64 v[87:88], v[56:57], s[0:1], v[32:33]
	v_add_f64 v[32:33], v[4:5], -v[26:27]
	v_fma_f64 v[26:27], v[40:41], 2.0, -v[56:57]
	v_fma_f64 v[44:45], v[30:31], 2.0, -v[60:61]
	;; [unrolled: 1-line block ×3, first 2 shown]
	v_fma_f64 v[80:81], v[56:57], s[0:1], v[58:59]
	v_fma_f64 v[85:86], v[62:63], s[0:1], v[60:61]
	;; [unrolled: 1-line block ×3, first 2 shown]
	v_add_f64 v[56:57], v[46:47], -v[54:55]
	v_add_f64 v[91:92], v[34:35], -v[10:11]
	;; [unrolled: 1-line block ×3, first 2 shown]
	v_fma_f64 v[40:41], v[111:112], 2.0, -v[40:41]
	v_fma_f64 v[52:53], v[78:79], 2.0, -v[52:53]
	;; [unrolled: 1-line block ×4, first 2 shown]
	v_fma_f64 v[20:21], v[26:27], s[6:7], v[38:39]
	v_fma_f64 v[50:51], v[50:51], 2.0, -v[70:71]
	v_fma_f64 v[62:63], v[14:15], s[6:7], v[44:45]
	v_fma_f64 v[12:13], v[12:13], 2.0, -v[72:73]
	v_fma_f64 v[28:29], v[28:29], 2.0, -v[74:75]
	;; [unrolled: 1-line block ×3, first 2 shown]
	v_fma_f64 v[80:81], v[70:71], s[6:7], v[80:81]
	v_fma_f64 v[85:86], v[72:73], s[6:7], v[85:86]
	;; [unrolled: 1-line block ×3, first 2 shown]
	v_add_f64 v[52:53], v[40:41], -v[52:53]
	v_add_f64 v[72:73], v[32:33], v[24:25]
	v_add_f64 v[78:79], v[0:1], -v[8:9]
	v_fma_f64 v[20:21], v[50:51], s[6:7], v[20:21]
	v_fma_f64 v[62:63], v[12:13], s[6:7], v[62:63]
	;; [unrolled: 1-line block ×4, first 2 shown]
	v_fma_f64 v[50:51], v[89:90], 2.0, -v[46:47]
	v_fma_f64 v[40:41], v[40:41], 2.0, -v[52:53]
	;; [unrolled: 1-line block ×4, first 2 shown]
	v_fma_f64 v[10:11], v[72:73], s[6:7], v[70:71]
	v_add_f64 v[70:71], v[78:79], v[52:53]
	v_fma_f64 v[52:53], v[62:63], s[16:17], v[20:21]
	v_fma_f64 v[89:90], v[14:15], s[0:1], v[8:9]
	;; [unrolled: 1-line block ×4, first 2 shown]
	v_add_f64 v[40:41], v[50:51], -v[40:41]
	v_add_f64 v[95:96], v[4:5], -v[16:17]
	v_fma_f64 v[97:98], v[0:1], 2.0, -v[78:79]
	v_fma_f64 v[0:1], v[22:23], 2.0, -v[54:55]
	;; [unrolled: 1-line block ×4, first 2 shown]
	v_fma_f64 v[12:13], v[72:73], s[0:1], v[70:71]
	v_fma_f64 v[14:15], v[89:90], s[18:19], v[52:53]
	;; [unrolled: 1-line block ×5, first 2 shown]
	v_add_f64 v[18:19], v[40:41], -v[95:96]
	v_add_f64 v[24:25], v[97:98], -v[0:1]
	;; [unrolled: 1-line block ×3, first 2 shown]
	v_fma_f64 v[8:9], v[91:92], s[0:1], v[12:13]
	v_fma_f64 v[26:27], v[20:21], 2.0, -v[14:15]
	v_fma_f64 v[12:13], v[62:63], s[8:9], v[16:17]
	v_fma_f64 v[20:21], v[38:39], 2.0, -v[20:21]
	v_fma_f64 v[62:63], v[44:45], 2.0, -v[62:63]
	;; [unrolled: 1-line block ×14, first 2 shown]
	v_fma_f64 v[0:1], v[85:86], s[16:17], v[30:31]
	v_fma_f64 v[30:31], v[40:41], 2.0, -v[18:19]
	v_add_f64 v[16:17], v[24:25], v[52:53]
	v_fma_f64 v[44:45], v[62:63], s[18:19], v[20:21]
	v_fma_f64 v[76:77], v[50:51], 2.0, -v[40:41]
	v_fma_f64 v[40:41], v[42:43], 2.0, -v[52:53]
	;; [unrolled: 1-line block ×4, first 2 shown]
	v_fma_f64 v[60:61], v[58:59], s[14:15], v[54:55]
	v_fma_f64 v[36:37], v[80:81], s[6:7], v[56:57]
	;; [unrolled: 1-line block ×6, first 2 shown]
	v_add_f64 v[46:47], v[76:77], -v[40:41]
	v_add_f64 v[44:45], v[52:53], -v[4:5]
	v_fma_f64 v[34:35], v[34:35], s[18:19], v[60:61]
	v_fma_f64 v[38:39], v[32:33], s[6:7], v[36:37]
	;; [unrolled: 1-line block ×5, first 2 shown]
	v_fma_f64 v[58:59], v[20:21], 2.0, -v[42:43]
	v_fma_f64 v[62:63], v[76:77], 2.0, -v[46:47]
	;; [unrolled: 1-line block ×12, first 2 shown]
	ds_write_b128 v83, v[60:63]
	ds_write_b128 v84, v[56:59] offset:208
	ds_write_b128 v84, v[52:55] offset:416
	;; [unrolled: 1-line block ×15, first 2 shown]
.LBB0_17:
	s_or_b64 exec, exec, s[4:5]
	s_waitcnt lgkmcnt(0)
	; wave barrier
	s_waitcnt lgkmcnt(0)
	ds_read_b128 v[4:7], v83
	v_sub_u32_e32 v12, v82, v67
	v_cmp_ne_u32_e64 s[0:1], 0, v66
                                        ; implicit-def: $vgpr2_vgpr3
                                        ; implicit-def: $vgpr8_vgpr9
                                        ; implicit-def: $vgpr10_vgpr11
	s_and_saveexec_b64 s[4:5], s[0:1]
	s_xor_b64 s[4:5], exec, s[4:5]
	s_cbranch_execz .LBB0_19
; %bb.18:
	v_mov_b32_e32 v67, 0
	v_lshlrev_b64 v[0:1], 4, v[66:67]
	v_mov_b32_e32 v2, s13
	v_add_co_u32_e64 v0, s[0:1], s12, v0
	v_addc_co_u32_e64 v1, s[0:1], v2, v1, s[0:1]
	global_load_dwordx4 v[0:3], v[0:1], off offset:3120
	ds_read_b128 v[8:11], v12 offset:3328
	s_waitcnt lgkmcnt(0)
	v_add_f64 v[13:14], v[4:5], -v[8:9]
	v_add_f64 v[15:16], v[6:7], v[10:11]
	v_add_f64 v[6:7], v[6:7], -v[10:11]
	v_add_f64 v[4:5], v[4:5], v[8:9]
	v_mul_f64 v[10:11], v[13:14], 0.5
	v_mul_f64 v[13:14], v[15:16], 0.5
	;; [unrolled: 1-line block ×3, first 2 shown]
	s_waitcnt vmcnt(0)
	v_mul_f64 v[8:9], v[10:11], v[2:3]
	v_fma_f64 v[15:16], v[13:14], v[2:3], v[6:7]
	v_fma_f64 v[2:3], v[13:14], v[2:3], -v[6:7]
	v_fma_f64 v[17:18], v[4:5], 0.5, v[8:9]
	v_fma_f64 v[4:5], v[4:5], 0.5, -v[8:9]
	v_fma_f64 v[8:9], -v[0:1], v[10:11], v[15:16]
	v_fma_f64 v[2:3], -v[0:1], v[10:11], v[2:3]
	v_mov_b32_e32 v10, v66
	v_mov_b32_e32 v11, v67
	v_fma_f64 v[6:7], v[13:14], v[0:1], v[17:18]
	v_fma_f64 v[0:1], -v[13:14], v[0:1], v[4:5]
                                        ; implicit-def: $vgpr4_vgpr5
	ds_write_b64 v83, v[6:7]
.LBB0_19:
	s_andn2_saveexec_b64 s[0:1], s[4:5]
	s_cbranch_execz .LBB0_21
; %bb.20:
	s_waitcnt lgkmcnt(0)
	v_add_f64 v[2:3], v[4:5], v[6:7]
	ds_read_b64 v[13:14], v82 offset:1672
	v_add_f64 v[0:1], v[4:5], -v[6:7]
	v_mov_b32_e32 v8, 0
	v_mov_b32_e32 v10, 0
	;; [unrolled: 1-line block ×3, first 2 shown]
	s_waitcnt lgkmcnt(0)
	v_xor_b32_e32 v14, 0x80000000, v14
	ds_write_b64 v82, v[13:14] offset:1672
	ds_write_b64 v83, v[2:3]
	v_mov_b32_e32 v2, v8
	v_mov_b32_e32 v11, 0
	;; [unrolled: 1-line block ×3, first 2 shown]
.LBB0_21:
	s_or_b64 exec, exec, s[0:1]
	s_add_u32 s0, s12, 0xc30
	s_waitcnt lgkmcnt(0)
	v_lshlrev_b64 v[4:5], 4, v[10:11]
	s_addc_u32 s1, s13, 0
	v_mov_b32_e32 v6, s1
	v_add_co_u32_e64 v4, s[0:1], s0, v4
	v_addc_co_u32_e64 v5, s[0:1], v6, v5, s[0:1]
	global_load_dwordx4 v[13:16], v[4:5], off offset:256
	global_load_dwordx4 v[17:20], v[4:5], off offset:512
	ds_write_b64 v83, v[8:9] offset:8
	ds_write_b128 v12, v[0:3] offset:3328
	ds_read_b128 v[0:3], v83 offset:256
	ds_read_b128 v[6:9], v12 offset:3072
	s_movk_i32 s0, 0x68
	s_waitcnt lgkmcnt(0)
	v_add_f64 v[10:11], v[0:1], -v[6:7]
	v_add_f64 v[21:22], v[2:3], v[8:9]
	v_add_f64 v[2:3], v[2:3], -v[8:9]
	v_add_f64 v[0:1], v[0:1], v[6:7]
	v_mul_f64 v[10:11], v[10:11], 0.5
	v_mul_f64 v[21:22], v[21:22], 0.5
	v_mul_f64 v[2:3], v[2:3], 0.5
	s_waitcnt vmcnt(1)
	v_mul_f64 v[6:7], v[10:11], v[15:16]
	v_fma_f64 v[8:9], v[21:22], v[15:16], v[2:3]
	v_fma_f64 v[15:16], v[21:22], v[15:16], -v[2:3]
	v_fma_f64 v[23:24], v[0:1], 0.5, v[6:7]
	v_fma_f64 v[25:26], v[0:1], 0.5, -v[6:7]
	global_load_dwordx4 v[0:3], v[4:5], off offset:768
	v_fma_f64 v[8:9], -v[13:14], v[10:11], v[8:9]
	v_fma_f64 v[15:16], -v[13:14], v[10:11], v[15:16]
	v_fma_f64 v[6:7], v[21:22], v[13:14], v[23:24]
	v_fma_f64 v[13:14], -v[21:22], v[13:14], v[25:26]
	ds_write_b128 v83, v[6:9] offset:256
	ds_write_b128 v12, v[13:16] offset:3072
	ds_read_b128 v[6:9], v83 offset:512
	ds_read_b128 v[13:16], v12 offset:2816
	s_waitcnt lgkmcnt(0)
	v_add_f64 v[10:11], v[6:7], -v[13:14]
	v_add_f64 v[21:22], v[8:9], v[15:16]
	v_add_f64 v[8:9], v[8:9], -v[15:16]
	v_add_f64 v[6:7], v[6:7], v[13:14]
	v_mul_f64 v[10:11], v[10:11], 0.5
	v_mul_f64 v[21:22], v[21:22], 0.5
	v_mul_f64 v[8:9], v[8:9], 0.5
	s_waitcnt vmcnt(1)
	v_mul_f64 v[13:14], v[10:11], v[19:20]
	v_fma_f64 v[15:16], v[21:22], v[19:20], v[8:9]
	v_fma_f64 v[19:20], v[21:22], v[19:20], -v[8:9]
	v_fma_f64 v[23:24], v[6:7], 0.5, v[13:14]
	v_fma_f64 v[25:26], v[6:7], 0.5, -v[13:14]
	global_load_dwordx4 v[6:9], v[4:5], off offset:1024
	v_fma_f64 v[15:16], -v[17:18], v[10:11], v[15:16]
	v_fma_f64 v[19:20], -v[17:18], v[10:11], v[19:20]
	v_fma_f64 v[13:14], v[21:22], v[17:18], v[23:24]
	v_fma_f64 v[17:18], -v[21:22], v[17:18], v[25:26]
	ds_write_b128 v83, v[13:16] offset:512
	ds_write_b128 v12, v[17:20] offset:2816
	ds_read_b128 v[13:16], v83 offset:768
	ds_read_b128 v[17:20], v12 offset:2560
	;; [unrolled: 23-line block ×3, first 2 shown]
	s_waitcnt lgkmcnt(0)
	v_add_f64 v[10:11], v[0:1], -v[17:18]
	v_add_f64 v[21:22], v[2:3], v[19:20]
	v_add_f64 v[2:3], v[2:3], -v[19:20]
	v_add_f64 v[0:1], v[0:1], v[17:18]
	v_mul_f64 v[10:11], v[10:11], 0.5
	v_mul_f64 v[19:20], v[21:22], 0.5
	;; [unrolled: 1-line block ×3, first 2 shown]
	s_waitcnt vmcnt(1)
	v_mul_f64 v[17:18], v[10:11], v[8:9]
	v_fma_f64 v[21:22], v[19:20], v[8:9], v[2:3]
	v_fma_f64 v[8:9], v[19:20], v[8:9], -v[2:3]
	v_fma_f64 v[23:24], v[0:1], 0.5, v[17:18]
	v_fma_f64 v[17:18], v[0:1], 0.5, -v[17:18]
	v_fma_f64 v[2:3], -v[6:7], v[10:11], v[21:22]
	v_fma_f64 v[8:9], -v[6:7], v[10:11], v[8:9]
	v_fma_f64 v[0:1], v[19:20], v[6:7], v[23:24]
	v_fma_f64 v[6:7], -v[19:20], v[6:7], v[17:18]
	ds_write_b128 v83, v[0:3] offset:1024
	ds_write_b128 v12, v[6:9] offset:2304
	ds_read_b128 v[0:3], v83 offset:1280
	ds_read_b128 v[6:9], v12 offset:2048
	s_waitcnt lgkmcnt(0)
	v_add_f64 v[10:11], v[0:1], -v[6:7]
	v_add_f64 v[17:18], v[2:3], v[8:9]
	v_add_f64 v[2:3], v[2:3], -v[8:9]
	v_add_f64 v[0:1], v[0:1], v[6:7]
	v_mul_f64 v[8:9], v[10:11], 0.5
	v_mul_f64 v[10:11], v[17:18], 0.5
	;; [unrolled: 1-line block ×3, first 2 shown]
	s_waitcnt vmcnt(0)
	v_mul_f64 v[6:7], v[8:9], v[15:16]
	v_fma_f64 v[17:18], v[10:11], v[15:16], v[2:3]
	v_fma_f64 v[15:16], v[10:11], v[15:16], -v[2:3]
	v_fma_f64 v[19:20], v[0:1], 0.5, v[6:7]
	v_fma_f64 v[6:7], v[0:1], 0.5, -v[6:7]
	v_fma_f64 v[2:3], -v[13:14], v[8:9], v[17:18]
	v_fma_f64 v[8:9], -v[13:14], v[8:9], v[15:16]
	v_fma_f64 v[0:1], v[10:11], v[13:14], v[19:20]
	v_fma_f64 v[6:7], -v[10:11], v[13:14], v[6:7]
	v_or_b32_e32 v10, 0x60, v66
	v_cmp_gt_u32_e64 s[0:1], s0, v10
	ds_write_b128 v83, v[0:3] offset:1280
	ds_write_b128 v12, v[6:9] offset:2048
	s_and_saveexec_b64 s[4:5], s[0:1]
	s_cbranch_execz .LBB0_23
; %bb.22:
	global_load_dwordx4 v[0:3], v[4:5], off offset:1536
	ds_read_b128 v[4:7], v83 offset:1536
	ds_read_b128 v[8:11], v12 offset:1792
	s_waitcnt lgkmcnt(0)
	v_add_f64 v[13:14], v[4:5], -v[8:9]
	v_add_f64 v[15:16], v[6:7], v[10:11]
	v_add_f64 v[6:7], v[6:7], -v[10:11]
	v_add_f64 v[4:5], v[4:5], v[8:9]
	v_mul_f64 v[10:11], v[13:14], 0.5
	v_mul_f64 v[13:14], v[15:16], 0.5
	;; [unrolled: 1-line block ×3, first 2 shown]
	s_waitcnt vmcnt(0)
	v_mul_f64 v[8:9], v[10:11], v[2:3]
	v_fma_f64 v[15:16], v[13:14], v[2:3], v[6:7]
	v_fma_f64 v[2:3], v[13:14], v[2:3], -v[6:7]
	v_fma_f64 v[6:7], v[4:5], 0.5, v[8:9]
	v_fma_f64 v[17:18], v[4:5], 0.5, -v[8:9]
	v_fma_f64 v[4:5], -v[0:1], v[10:11], v[15:16]
	v_fma_f64 v[8:9], -v[0:1], v[10:11], v[2:3]
	v_fma_f64 v[2:3], v[13:14], v[0:1], v[6:7]
	v_fma_f64 v[6:7], -v[13:14], v[0:1], v[17:18]
	ds_write_b128 v83, v[2:5] offset:1536
	ds_write_b128 v12, v[6:9] offset:1792
.LBB0_23:
	s_or_b64 exec, exec, s[4:5]
	s_waitcnt lgkmcnt(0)
	; wave barrier
	s_waitcnt lgkmcnt(0)
	s_and_saveexec_b64 s[0:1], vcc
	s_cbranch_execz .LBB0_26
; %bb.24:
	v_mul_lo_u32 v2, s3, v68
	v_mul_lo_u32 v3, s2, v69
	v_mad_u64_u32 v[0:1], s[0:1], s2, v68, 0
	v_mov_b32_e32 v7, s11
	v_mov_b32_e32 v67, 0
	v_add3_u32 v1, v1, v3, v2
	v_lshlrev_b64 v[0:1], 4, v[0:1]
	v_lshl_add_u32 v2, v66, 4, v82
	v_add_co_u32_e32 v8, vcc, s10, v0
	v_addc_co_u32_e32 v7, vcc, v7, v1, vcc
	v_lshlrev_b64 v[0:1], 4, v[64:65]
	ds_read_b128 v[3:6], v2
	v_add_co_u32_e32 v0, vcc, v8, v0
	v_addc_co_u32_e32 v1, vcc, v7, v1, vcc
	v_lshlrev_b64 v[7:8], 4, v[66:67]
	v_add_co_u32_e32 v11, vcc, v0, v7
	v_addc_co_u32_e32 v12, vcc, v1, v8, vcc
	ds_read_b128 v[7:10], v2 offset:256
	s_waitcnt lgkmcnt(1)
	global_store_dwordx4 v[11:12], v[3:6], off
	s_nop 0
	v_add_u32_e32 v3, 16, v66
	v_mov_b32_e32 v4, v67
	v_lshlrev_b64 v[3:4], 4, v[3:4]
	v_add_co_u32_e32 v3, vcc, v0, v3
	v_addc_co_u32_e32 v4, vcc, v1, v4, vcc
	s_waitcnt lgkmcnt(0)
	global_store_dwordx4 v[3:4], v[7:10], off
	ds_read_b128 v[3:6], v2 offset:512
	v_add_u32_e32 v7, 32, v66
	v_mov_b32_e32 v8, v67
	v_lshlrev_b64 v[7:8], 4, v[7:8]
	v_add_co_u32_e32 v11, vcc, v0, v7
	v_addc_co_u32_e32 v12, vcc, v1, v8, vcc
	ds_read_b128 v[7:10], v2 offset:768
	s_waitcnt lgkmcnt(1)
	global_store_dwordx4 v[11:12], v[3:6], off
	s_nop 0
	v_add_u32_e32 v3, 48, v66
	v_mov_b32_e32 v4, v67
	v_lshlrev_b64 v[3:4], 4, v[3:4]
	v_add_co_u32_e32 v3, vcc, v0, v3
	v_addc_co_u32_e32 v4, vcc, v1, v4, vcc
	s_waitcnt lgkmcnt(0)
	global_store_dwordx4 v[3:4], v[7:10], off
	ds_read_b128 v[3:6], v2 offset:1024
	v_add_u32_e32 v7, 64, v66
	v_mov_b32_e32 v8, v67
	;; [unrolled: 17-line block ×6, first 2 shown]
	v_lshlrev_b64 v[7:8], 4, v[7:8]
	v_add_co_u32_e32 v7, vcc, v0, v7
	v_addc_co_u32_e32 v8, vcc, v1, v8, vcc
	v_cmp_eq_u32_e32 vcc, 15, v66
	s_waitcnt lgkmcnt(0)
	global_store_dwordx4 v[7:8], v[3:6], off
	s_and_b64 exec, exec, vcc
	s_cbranch_execz .LBB0_26
; %bb.25:
	ds_read_b128 v[2:5], v2 offset:3088
	s_waitcnt lgkmcnt(0)
	global_store_dwordx4 v[0:1], v[2:5], off offset:3328
.LBB0_26:
	s_endpgm
	.section	.rodata,"a",@progbits
	.p2align	6, 0x0
	.amdhsa_kernel fft_rtc_back_len208_factors_13_16_wgs_64_tpt_16_halfLds_dp_op_CI_CI_unitstride_sbrr_R2C_dirReg
		.amdhsa_group_segment_fixed_size 0
		.amdhsa_private_segment_fixed_size 0
		.amdhsa_kernarg_size 104
		.amdhsa_user_sgpr_count 6
		.amdhsa_user_sgpr_private_segment_buffer 1
		.amdhsa_user_sgpr_dispatch_ptr 0
		.amdhsa_user_sgpr_queue_ptr 0
		.amdhsa_user_sgpr_kernarg_segment_ptr 1
		.amdhsa_user_sgpr_dispatch_id 0
		.amdhsa_user_sgpr_flat_scratch_init 0
		.amdhsa_user_sgpr_private_segment_size 0
		.amdhsa_uses_dynamic_stack 0
		.amdhsa_system_sgpr_private_segment_wavefront_offset 0
		.amdhsa_system_sgpr_workgroup_id_x 1
		.amdhsa_system_sgpr_workgroup_id_y 0
		.amdhsa_system_sgpr_workgroup_id_z 0
		.amdhsa_system_sgpr_workgroup_info 0
		.amdhsa_system_vgpr_workitem_id 0
		.amdhsa_next_free_vgpr 127
		.amdhsa_next_free_sgpr 44
		.amdhsa_reserve_vcc 1
		.amdhsa_reserve_flat_scratch 0
		.amdhsa_float_round_mode_32 0
		.amdhsa_float_round_mode_16_64 0
		.amdhsa_float_denorm_mode_32 3
		.amdhsa_float_denorm_mode_16_64 3
		.amdhsa_dx10_clamp 1
		.amdhsa_ieee_mode 1
		.amdhsa_fp16_overflow 0
		.amdhsa_exception_fp_ieee_invalid_op 0
		.amdhsa_exception_fp_denorm_src 0
		.amdhsa_exception_fp_ieee_div_zero 0
		.amdhsa_exception_fp_ieee_overflow 0
		.amdhsa_exception_fp_ieee_underflow 0
		.amdhsa_exception_fp_ieee_inexact 0
		.amdhsa_exception_int_div_zero 0
	.end_amdhsa_kernel
	.text
.Lfunc_end0:
	.size	fft_rtc_back_len208_factors_13_16_wgs_64_tpt_16_halfLds_dp_op_CI_CI_unitstride_sbrr_R2C_dirReg, .Lfunc_end0-fft_rtc_back_len208_factors_13_16_wgs_64_tpt_16_halfLds_dp_op_CI_CI_unitstride_sbrr_R2C_dirReg
                                        ; -- End function
	.section	.AMDGPU.csdata,"",@progbits
; Kernel info:
; codeLenInByte = 9876
; NumSgprs: 48
; NumVgprs: 127
; ScratchSize: 0
; MemoryBound: 0
; FloatMode: 240
; IeeeMode: 1
; LDSByteSize: 0 bytes/workgroup (compile time only)
; SGPRBlocks: 5
; VGPRBlocks: 31
; NumSGPRsForWavesPerEU: 48
; NumVGPRsForWavesPerEU: 127
; Occupancy: 2
; WaveLimiterHint : 1
; COMPUTE_PGM_RSRC2:SCRATCH_EN: 0
; COMPUTE_PGM_RSRC2:USER_SGPR: 6
; COMPUTE_PGM_RSRC2:TRAP_HANDLER: 0
; COMPUTE_PGM_RSRC2:TGID_X_EN: 1
; COMPUTE_PGM_RSRC2:TGID_Y_EN: 0
; COMPUTE_PGM_RSRC2:TGID_Z_EN: 0
; COMPUTE_PGM_RSRC2:TIDIG_COMP_CNT: 0
	.type	__hip_cuid_3530824f5f0418ae,@object ; @__hip_cuid_3530824f5f0418ae
	.section	.bss,"aw",@nobits
	.globl	__hip_cuid_3530824f5f0418ae
__hip_cuid_3530824f5f0418ae:
	.byte	0                               ; 0x0
	.size	__hip_cuid_3530824f5f0418ae, 1

	.ident	"AMD clang version 19.0.0git (https://github.com/RadeonOpenCompute/llvm-project roc-6.4.0 25133 c7fe45cf4b819c5991fe208aaa96edf142730f1d)"
	.section	".note.GNU-stack","",@progbits
	.addrsig
	.addrsig_sym __hip_cuid_3530824f5f0418ae
	.amdgpu_metadata
---
amdhsa.kernels:
  - .args:
      - .actual_access:  read_only
        .address_space:  global
        .offset:         0
        .size:           8
        .value_kind:     global_buffer
      - .offset:         8
        .size:           8
        .value_kind:     by_value
      - .actual_access:  read_only
        .address_space:  global
        .offset:         16
        .size:           8
        .value_kind:     global_buffer
      - .actual_access:  read_only
        .address_space:  global
        .offset:         24
        .size:           8
        .value_kind:     global_buffer
      - .actual_access:  read_only
        .address_space:  global
        .offset:         32
        .size:           8
        .value_kind:     global_buffer
      - .offset:         40
        .size:           8
        .value_kind:     by_value
      - .actual_access:  read_only
        .address_space:  global
        .offset:         48
        .size:           8
        .value_kind:     global_buffer
      - .actual_access:  read_only
        .address_space:  global
        .offset:         56
        .size:           8
        .value_kind:     global_buffer
      - .offset:         64
        .size:           4
        .value_kind:     by_value
      - .actual_access:  read_only
        .address_space:  global
        .offset:         72
        .size:           8
        .value_kind:     global_buffer
      - .actual_access:  read_only
        .address_space:  global
        .offset:         80
        .size:           8
        .value_kind:     global_buffer
      - .actual_access:  read_only
        .address_space:  global
        .offset:         88
        .size:           8
        .value_kind:     global_buffer
      - .actual_access:  write_only
        .address_space:  global
        .offset:         96
        .size:           8
        .value_kind:     global_buffer
    .group_segment_fixed_size: 0
    .kernarg_segment_align: 8
    .kernarg_segment_size: 104
    .language:       OpenCL C
    .language_version:
      - 2
      - 0
    .max_flat_workgroup_size: 64
    .name:           fft_rtc_back_len208_factors_13_16_wgs_64_tpt_16_halfLds_dp_op_CI_CI_unitstride_sbrr_R2C_dirReg
    .private_segment_fixed_size: 0
    .sgpr_count:     48
    .sgpr_spill_count: 0
    .symbol:         fft_rtc_back_len208_factors_13_16_wgs_64_tpt_16_halfLds_dp_op_CI_CI_unitstride_sbrr_R2C_dirReg.kd
    .uniform_work_group_size: 1
    .uses_dynamic_stack: false
    .vgpr_count:     127
    .vgpr_spill_count: 0
    .wavefront_size: 64
amdhsa.target:   amdgcn-amd-amdhsa--gfx906
amdhsa.version:
  - 1
  - 2
...

	.end_amdgpu_metadata
